;; amdgpu-corpus repo=ROCm/rocFFT kind=compiled arch=gfx1030 opt=O3
	.text
	.amdgcn_target "amdgcn-amd-amdhsa--gfx1030"
	.amdhsa_code_object_version 6
	.protected	fft_rtc_back_len243_factors_3_3_3_3_3_wgs_216_tpt_27_half_op_CI_CI_sbrc_xy_z_unaligned_dirReg ; -- Begin function fft_rtc_back_len243_factors_3_3_3_3_3_wgs_216_tpt_27_half_op_CI_CI_sbrc_xy_z_unaligned_dirReg
	.globl	fft_rtc_back_len243_factors_3_3_3_3_3_wgs_216_tpt_27_half_op_CI_CI_sbrc_xy_z_unaligned_dirReg
	.p2align	8
	.type	fft_rtc_back_len243_factors_3_3_3_3_3_wgs_216_tpt_27_half_op_CI_CI_sbrc_xy_z_unaligned_dirReg,@function
fft_rtc_back_len243_factors_3_3_3_3_3_wgs_216_tpt_27_half_op_CI_CI_sbrc_xy_z_unaligned_dirReg: ; @fft_rtc_back_len243_factors_3_3_3_3_3_wgs_216_tpt_27_half_op_CI_CI_sbrc_xy_z_unaligned_dirReg
; %bb.0:
	s_clause 0x1
	s_load_dwordx4 s[0:3], s[4:5], 0x10
	s_load_dwordx2 s[24:25], s[4:5], 0x20
	s_waitcnt lgkmcnt(0)
	s_load_dwordx4 s[12:15], s[0:1], 0x8
	s_clause 0x1
	s_load_dwordx4 s[16:19], s[2:3], 0x0
	s_load_dwordx2 s[20:21], s[2:3], 0x10
	s_waitcnt lgkmcnt(0)
	s_add_i32 s0, s14, -1
	s_lshr_b32 s0, s0, 3
	s_add_i32 s0, s0, 1
	s_mul_i32 s0, s0, s12
	v_cvt_f32_u32_e32 v1, s0
	s_sub_i32 s7, 0, s0
	v_rcp_iflag_f32_e32 v1, v1
	v_mul_f32_e32 v1, 0x4f7ffffe, v1
	v_cvt_u32_f32_e32 v1, v1
	v_readfirstlane_b32 s1, v1
	v_cvt_f32_u32_e32 v1, s12
	s_mul_i32 s7, s7, s1
	s_mul_hi_u32 s7, s1, s7
	s_add_i32 s1, s1, s7
	s_mul_hi_u32 s1, s6, s1
	s_mul_i32 s7, s1, s0
	s_add_i32 s8, s1, 1
	s_sub_i32 s7, s6, s7
	s_sub_i32 s9, s7, s0
	s_cmp_ge_u32 s7, s0
	s_cselect_b32 s1, s8, s1
	s_cselect_b32 s7, s9, s7
	s_add_i32 s8, s1, 1
	s_cmp_ge_u32 s7, s0
	s_mov_b32 s7, 0
	s_cselect_b32 s15, s8, s1
	s_mov_b32 s9, s7
	s_mul_i32 s0, s15, s0
	s_sub_i32 s8, s6, s0
	v_cmp_lt_u64_e64 s0, s[8:9], s[12:13]
	s_and_b32 vcc_lo, exec_lo, s0
	s_mov_b64 s[0:1], 0
	s_cbranch_vccnz .LBB0_2
; %bb.1:
	v_rcp_iflag_f32_e32 v2, v1
	s_sub_i32 s1, 0, s12
	v_mul_f32_e32 v2, 0x4f7ffffe, v2
	v_cvt_u32_f32_e32 v2, v2
	v_readfirstlane_b32 s0, v2
	s_mul_i32 s1, s1, s0
	s_mul_hi_u32 s1, s0, s1
	s_add_i32 s0, s0, s1
	s_mul_hi_u32 s0, s8, s0
	s_mul_i32 s1, s0, s12
	s_sub_i32 s1, s8, s1
	s_add_i32 s8, s0, 1
	s_sub_i32 s9, s1, s12
	s_cmp_ge_u32 s1, s12
	s_cselect_b32 s0, s8, s0
	s_cselect_b32 s1, s9, s1
	s_add_i32 s8, s0, 1
	s_cmp_ge_u32 s1, s12
	s_cselect_b32 s0, s8, s0
.LBB0_2:
	s_load_dwordx2 s[22:23], s[4:5], 0x58
	v_cmp_lt_u64_e64 s1, s[6:7], s[12:13]
	s_and_b32 vcc_lo, exec_lo, s1
	s_cbranch_vccnz .LBB0_4
; %bb.3:
	v_rcp_iflag_f32_e32 v1, v1
	s_sub_i32 s7, 0, s12
	v_mul_f32_e32 v1, 0x4f7ffffe, v1
	v_cvt_u32_f32_e32 v1, v1
	v_readfirstlane_b32 s1, v1
	s_mul_i32 s7, s7, s1
	s_mul_hi_u32 s7, s1, s7
	s_add_i32 s1, s1, s7
	s_mul_hi_u32 s1, s6, s1
	s_mul_i32 s1, s1, s12
	s_sub_i32 s1, s6, s1
	s_sub_i32 s6, s1, s12
	s_cmp_ge_u32 s1, s12
	s_cselect_b32 s1, s6, s1
	s_sub_i32 s6, s1, s12
	s_cmp_ge_u32 s1, s12
	s_cselect_b32 s6, s6, s1
.LBB0_4:
	s_load_dwordx4 s[8:11], s[4:5], 0x0
	s_lshl_b32 s21, s0, 3
	s_mul_i32 s7, s6, s18
	s_mul_i32 s12, s21, s20
	s_add_i32 s7, s7, s12
	s_waitcnt lgkmcnt(0)
	s_lshl_b64 s[0:1], s[10:11], 3
	s_add_u32 s2, s2, s0
	s_addc_u32 s3, s3, s1
	s_load_dwordx2 s[2:3], s[2:3], 0x0
	s_waitcnt lgkmcnt(0)
	s_mul_i32 s3, s3, s15
	s_mul_hi_u32 s10, s2, s15
	s_mul_i32 s2, s2, s15
	s_add_i32 s10, s10, s3
	s_add_u32 s18, s2, s7
	s_addc_u32 s19, s10, 0
	s_add_u32 s10, s24, s0
	s_addc_u32 s11, s25, s1
	s_clause 0x2
	s_load_dwordx4 s[0:3], s[24:25], 0x0
	s_load_dwordx2 s[12:13], s[24:25], 0x10
	s_load_dwordx2 s[10:11], s[10:11], 0x0
	s_waitcnt lgkmcnt(0)
	s_add_i32 s3, s21, 8
	s_mov_b32 s7, 0
	s_cmp_le_u32 s3, s14
	s_mov_b32 s13, -1
	s_cselect_b32 s3, -1, 0
	s_and_b32 vcc_lo, exec_lo, s3
	s_cbranch_vccnz .LBB0_8
; %bb.5:
	s_lshl_b64 s[24:25], s[18:19], 2
	v_mov_b32_e32 v2, 0
	v_mov_b32_e32 v3, 0xdb3
	;; [unrolled: 1-line block ×3, first 2 shown]
	s_add_u32 s13, s22, s24
	s_addc_u32 s24, s23, s25
.LBB0_6:                                ; =>This Inner Loop Header: Depth=1
	v_mul_u32_u24_sdwa v1, v4, v3 dst_sel:DWORD dst_unused:UNUSED_PAD src0_sel:WORD_0 src1_sel:DWORD
	v_lshrrev_b32_e32 v1, 16, v1
	v_sub_nc_u16 v5, v4, v1
	v_lshrrev_b16 v5, 1, v5
	v_add_nc_u16 v1, v5, v1
	v_lshrrev_b16 v9, 7, v1
	v_mul_lo_u16 v1, 0xf3, v9
	v_sub_nc_u16 v10, v4, v1
	v_add_nc_u32_e32 v4, 0xd8, v4
	v_and_b32_e32 v7, 0xffff, v10
	v_mad_u64_u32 v[5:6], null, s16, v7, 0
	v_mov_b32_e32 v1, v6
	v_mad_u64_u32 v[6:7], null, s17, v7, v[1:2]
	v_and_b32_e32 v1, 0xffff, v9
	v_mul_lo_u32 v1, s20, v1
	v_lshlrev_b64 v[5:6], 2, v[5:6]
	v_lshlrev_b64 v[7:8], 2, v[1:2]
	v_add_co_u32 v1, vcc_lo, s13, v5
	v_add_co_ci_u32_e32 v6, vcc_lo, s24, v6, vcc_lo
	v_add_co_u32 v5, vcc_lo, v1, v7
	v_add_co_ci_u32_e32 v6, vcc_lo, v6, v8, vcc_lo
	v_cmp_lt_u32_e32 vcc_lo, 0x797, v4
	global_load_dword v1, v[5:6], off
	v_lshlrev_b16 v5, 3, v10
	s_or_b32 s7, vcc_lo, s7
	v_add_nc_u16 v5, v5, v9
	v_and_b32_e32 v5, 0xffff, v5
	v_lshl_add_u32 v5, v5, 2, 0
	s_waitcnt vmcnt(0)
	ds_write_b32 v5, v1
	s_andn2_b32 exec_lo, exec_lo, s7
	s_cbranch_execnz .LBB0_6
; %bb.7:
	s_or_b32 exec_lo, exec_lo, s7
	s_mov_b32 s13, 0
.LBB0_8:
	s_and_b32 vcc_lo, exec_lo, s13
	s_cbranch_vccz .LBB0_10
; %bb.9:
	v_mul_u32_u24_e32 v1, 0x10e, v0
	v_add_nc_u16 v3, v0, 0xd8
	v_mov_b32_e32 v2, 0x10e
	v_add_nc_u16 v5, v0, 0x1b0
	v_mov_b32_e32 v17, 0x437
	v_lshrrev_b32_e32 v20, 16, v1
	v_add_nc_u16 v12, v0, 0x288
	v_mul_u32_u24_sdwa v1, v3, v2 dst_sel:DWORD dst_unused:UNUSED_PAD src0_sel:WORD_0 src1_sel:DWORD
	v_mov_b32_e32 v2, 0
	v_add_nc_u16 v16, v0, 0x360
	v_mul_lo_u16 v4, 0xf3, v20
	v_mul_u32_u24_sdwa v8, v12, v17 dst_sel:DWORD dst_unused:UNUSED_PAD src0_sel:WORD_0 src1_sel:DWORD
	v_lshrrev_b32_e32 v21, 16, v1
	v_mul_u32_u24_sdwa v1, v5, v17 dst_sel:DWORD dst_unused:UNUSED_PAD src0_sel:WORD_0 src1_sel:DWORD
	s_lshl_b64 s[18:19], s[18:19], 2
	v_sub_nc_u16 v22, v0, v4
	v_lshrrev_b32_e32 v26, 18, v8
	v_mul_lo_u16 v4, 0xf3, v21
	v_lshrrev_b32_e32 v23, 18, v1
	v_mul_lo_u32 v1, s20, v20
	v_and_b32_e32 v7, 0xffff, v22
	v_mul_u32_u24_sdwa v18, v16, v17 dst_sel:DWORD dst_unused:UNUSED_PAD src0_sel:WORD_0 src1_sel:DWORD
	v_sub_nc_u16 v24, v3, v4
	v_mul_lo_u16 v6, 0xf3, v23
	s_add_u32 s7, s22, s18
	v_mad_u64_u32 v[3:4], null, s16, v7, 0
	v_and_b32_e32 v13, 0xffff, v24
	v_sub_nc_u16 v25, v5, v6
	s_addc_u32 s13, s23, s19
	v_lshrrev_b32_e32 v28, 18, v18
	v_add_nc_u16 v18, v0, 0x438
	v_mad_u64_u32 v[5:6], null, s16, v13, 0
	v_and_b32_e32 v14, 0xffff, v25
	v_mad_u64_u32 v[10:11], null, s16, v14, 0
	v_mad_u64_u32 v[7:8], null, s17, v7, v[4:5]
	v_mul_lo_u16 v4, 0xf3, v26
	v_lshlrev_b64 v[8:9], 2, v[1:2]
	v_mul_lo_u32 v1, s20, v21
	v_sub_nc_u16 v27, v12, v4
	v_mov_b32_e32 v4, v7
	v_mad_u64_u32 v[6:7], null, s17, v13, v[6:7]
	v_mov_b32_e32 v7, v11
	v_lshlrev_b64 v[12:13], 2, v[1:2]
	v_lshlrev_b64 v[3:4], 2, v[3:4]
	v_and_b32_e32 v19, 0xffff, v27
	v_mad_u64_u32 v[14:15], null, s17, v14, v[7:8]
	v_add_co_u32 v1, vcc_lo, s7, v3
	v_add_co_ci_u32_e32 v7, vcc_lo, s13, v4, vcc_lo
	v_lshlrev_b64 v[3:4], 2, v[5:6]
	v_add_co_u32 v5, vcc_lo, v1, v8
	v_add_co_ci_u32_e32 v6, vcc_lo, v7, v9, vcc_lo
	v_mov_b32_e32 v11, v14
	v_mul_lo_u16 v9, 0xf3, v28
	v_mad_u64_u32 v[7:8], null, s16, v19, 0
	v_add_co_u32 v1, vcc_lo, s7, v3
	v_sub_nc_u16 v29, v16, v9
	v_lshlrev_b64 v[9:10], 2, v[10:11]
	v_add_co_ci_u32_e32 v4, vcc_lo, s13, v4, vcc_lo
	v_add_co_u32 v3, vcc_lo, v1, v12
	v_and_b32_e32 v15, 0xffff, v29
	v_mad_u64_u32 v[11:12], null, s17, v19, v[8:9]
	v_mul_u32_u24_sdwa v19, v18, v17 dst_sel:DWORD dst_unused:UNUSED_PAD src0_sel:WORD_0 src1_sel:DWORD
	v_mul_lo_u32 v1, s20, v23
	v_add_co_ci_u32_e32 v4, vcc_lo, v4, v13, vcc_lo
	v_mad_u64_u32 v[12:13], null, s16, v15, 0
	v_lshrrev_b32_e32 v30, 18, v19
	v_add_co_u32 v14, vcc_lo, s7, v9
	v_mov_b32_e32 v8, v11
	v_add_co_ci_u32_e32 v16, vcc_lo, s13, v10, vcc_lo
	v_lshlrev_b64 v[9:10], 2, v[1:2]
	v_mul_lo_u32 v1, s20, v26
	v_mul_lo_u16 v19, 0xf3, v30
	v_mov_b32_e32 v11, v13
	v_lshlrev_b64 v[7:8], 2, v[7:8]
	v_add_co_u32 v9, vcc_lo, v14, v9
	v_sub_nc_u16 v31, v18, v19
	v_add_co_ci_u32_e32 v10, vcc_lo, v16, v10, vcc_lo
	v_lshlrev_b64 v[13:14], 2, v[1:2]
	v_mad_u64_u32 v[15:16], null, s17, v15, v[11:12]
	v_add_co_u32 v1, vcc_lo, s7, v7
	v_add_co_ci_u32_e32 v8, vcc_lo, s13, v8, vcc_lo
	v_and_b32_e32 v11, 0xffff, v31
	v_add_nc_u16 v16, v0, 0x510
	v_add_co_u32 v7, vcc_lo, v1, v13
	v_add_co_ci_u32_e32 v8, vcc_lo, v8, v14, vcc_lo
	v_mov_b32_e32 v13, v15
	v_mad_u64_u32 v[14:15], null, s16, v11, 0
	v_mul_u32_u24_sdwa v1, v16, v17 dst_sel:DWORD dst_unused:UNUSED_PAD src0_sel:WORD_0 src1_sel:DWORD
	s_clause 0x3
	global_load_dword v32, v[5:6], off
	global_load_dword v33, v[3:4], off
	;; [unrolled: 1-line block ×4, first 2 shown]
	v_add_nc_u16 v7, v0, 0x5e8
	v_add_nc_u16 v10, v0, 0x6c0
	v_lshlrev_b64 v[3:4], 2, v[12:13]
	v_lshrrev_b32_e32 v36, 18, v1
	v_mov_b32_e32 v5, v15
	v_mul_u32_u24_sdwa v9, v7, v17 dst_sel:DWORD dst_unused:UNUSED_PAD src0_sel:WORD_0 src1_sel:DWORD
	v_mul_lo_u32 v1, s20, v28
	v_mul_lo_u16 v8, 0xf3, v36
	v_mad_u64_u32 v[5:6], null, s17, v11, v[5:6]
	v_lshrrev_b32_e32 v38, 18, v9
	v_mul_u32_u24_sdwa v6, v10, v17 dst_sel:DWORD dst_unused:UNUSED_PAD src0_sel:WORD_0 src1_sel:DWORD
	v_sub_nc_u16 v37, v16, v8
	v_add_co_u32 v8, vcc_lo, s7, v3
	v_add_co_ci_u32_e32 v9, vcc_lo, s13, v4, vcc_lo
	v_lshlrev_b64 v[3:4], 2, v[1:2]
	v_mul_lo_u16 v1, 0xf3, v38
	v_lshrrev_b32_e32 v39, 18, v6
	v_and_b32_e32 v11, 0xffff, v37
	v_mov_b32_e32 v15, v5
	v_sub_nc_u16 v40, v7, v1
	v_mul_lo_u16 v1, 0xf3, v39
	v_mad_u64_u32 v[5:6], null, s16, v11, 0
	v_add_co_u32 v3, vcc_lo, v8, v3
	v_and_b32_e32 v16, 0xffff, v40
	v_sub_nc_u16 v41, v10, v1
	v_lshlrev_b64 v[7:8], 2, v[14:15]
	v_add_co_ci_u32_e32 v4, vcc_lo, v9, v4, vcc_lo
	v_mad_u64_u32 v[9:10], null, s16, v16, 0
	v_and_b32_e32 v18, 0xffff, v41
	v_mul_lo_u32 v1, s20, v30
	v_mad_u64_u32 v[11:12], null, s17, v11, v[6:7]
	v_add_co_u32 v17, vcc_lo, s7, v7
	v_mad_u64_u32 v[12:13], null, s16, v18, 0
	v_mov_b32_e32 v7, v10
	v_lshlrev_b64 v[14:15], 2, v[1:2]
	v_add_co_ci_u32_e32 v19, vcc_lo, s13, v8, vcc_lo
	v_mul_lo_u32 v1, s20, v36
	v_mad_u64_u32 v[7:8], null, s17, v16, v[7:8]
	v_mov_b32_e32 v8, v13
	v_mov_b32_e32 v6, v11
	v_add_co_u32 v14, vcc_lo, v17, v14
	v_add_co_ci_u32_e32 v15, vcc_lo, v19, v15, vcc_lo
	v_mad_u64_u32 v[18:19], null, s17, v18, v[8:9]
	v_lshlrev_b64 v[5:6], 2, v[5:6]
	v_lshlrev_b64 v[16:17], 2, v[1:2]
	v_mul_lo_u32 v1, s20, v38
	v_mov_b32_e32 v10, v7
	v_add_co_u32 v7, vcc_lo, s7, v5
	v_mov_b32_e32 v13, v18
	v_add_co_ci_u32_e32 v8, vcc_lo, s13, v6, vcc_lo
	v_lshlrev_b64 v[5:6], 2, v[9:10]
	v_lshlrev_b64 v[9:10], 2, v[1:2]
	v_mul_lo_u32 v1, s20, v39
	v_add_co_u32 v7, vcc_lo, v7, v16
	v_lshlrev_b64 v[11:12], 2, v[12:13]
	v_add_co_ci_u32_e32 v8, vcc_lo, v8, v17, vcc_lo
	v_add_co_u32 v5, vcc_lo, s7, v5
	v_add_co_ci_u32_e32 v6, vcc_lo, s13, v6, vcc_lo
	v_add_co_u32 v11, vcc_lo, s7, v11
	v_lshlrev_b64 v[1:2], 2, v[1:2]
	v_add_co_ci_u32_e32 v12, vcc_lo, s13, v12, vcc_lo
	v_add_co_u32 v5, vcc_lo, v5, v9
	v_add_co_ci_u32_e32 v6, vcc_lo, v6, v10, vcc_lo
	v_add_co_u32 v1, vcc_lo, v11, v1
	v_add_co_ci_u32_e32 v2, vcc_lo, v12, v2, vcc_lo
	s_clause 0x4
	global_load_dword v3, v[3:4], off
	global_load_dword v4, v[14:15], off
	;; [unrolled: 1-line block ×5, first 2 shown]
	v_lshlrev_b16 v2, 3, v22
	v_lshlrev_b16 v6, 3, v24
	;; [unrolled: 1-line block ×5, first 2 shown]
	v_or_b32_e32 v2, v2, v20
	v_or_b32_e32 v6, v6, v21
	;; [unrolled: 1-line block ×4, first 2 shown]
	v_lshlrev_b16 v11, 3, v31
	v_and_b32_e32 v2, 0xffff, v2
	v_and_b32_e32 v6, 0xffff, v6
	;; [unrolled: 1-line block ×4, first 2 shown]
	v_lshlrev_b16 v12, 3, v37
	v_lshl_add_u32 v2, v2, 2, 0
	v_lshl_add_u32 v6, v6, 2, 0
	v_lshl_add_u32 v8, v8, 2, 0
	v_lshl_add_u32 v9, v9, 2, 0
	s_waitcnt vmcnt(8)
	ds_write_b32 v2, v32
	s_waitcnt vmcnt(7)
	ds_write_b32 v6, v33
	;; [unrolled: 2-line block ×4, first 2 shown]
	v_lshlrev_b16 v2, 3, v40
	v_lshlrev_b16 v6, 3, v41
	v_add_nc_u16 v8, v10, v28
	v_or_b32_e32 v9, v11, v30
	v_add_nc_u16 v10, v12, v36
	v_add_nc_u16 v2, v2, v38
	;; [unrolled: 1-line block ×3, first 2 shown]
	v_and_b32_e32 v8, 0xffff, v8
	v_and_b32_e32 v9, 0xffff, v9
	;; [unrolled: 1-line block ×5, first 2 shown]
	v_lshl_add_u32 v8, v8, 2, 0
	v_lshl_add_u32 v9, v9, 2, 0
	;; [unrolled: 1-line block ×5, first 2 shown]
	s_waitcnt vmcnt(4)
	ds_write_b32 v8, v3
	s_waitcnt vmcnt(3)
	ds_write_b32 v9, v4
	;; [unrolled: 2-line block ×5, first 2 shown]
.LBB0_10:
	v_lshrrev_b32_e32 v7, 3, v0
	v_and_b32_e32 v4, 7, v0
	s_waitcnt lgkmcnt(0)
	s_barrier
	buffer_gl0_inv
	v_lshlrev_b32_e32 v1, 5, v7
	v_lshlrev_b32_e32 v8, 2, v4
	v_add_nc_u32_e32 v5, 27, v7
	v_mul_hi_u32 v15, 0x55555556, v7
	s_mov_b32 s7, 0
	v_add3_u32 v6, 0, v1, v8
	v_mul_hi_u32 v20, 0x55555556, v5
	v_lshl_add_u32 v15, v15, 1, v15
	v_add_nc_u32_e32 v3, 0x680, v6
	v_add_nc_u32_e32 v11, 0x1400, v6
	;; [unrolled: 1-line block ×3, first 2 shown]
	ds_read2_b32 v[1:2], v6 offset1:216
	ds_read2_b32 v[9:10], v3 offset0:16 offset1:232
	ds_read2_b32 v[11:12], v11 offset0:16 offset1:232
	;; [unrolled: 1-line block ×3, first 2 shown]
	ds_read_b32 v16, v6 offset:6912
	v_add_nc_u32_e32 v3, 54, v7
	v_lshl_add_u32 v22, v7, 6, v6
	v_mul_u32_u24_e32 v17, 3, v20
	s_waitcnt lgkmcnt(0)
	s_barrier
	v_mul_hi_u32 v21, 0x55555556, v3
	v_add_nc_u32_e32 v18, 0x800, v22
	buffer_gl0_inv
	v_mul_u32_u24_e32 v20, 9, v20
	v_add_nc_u32_e32 v29, 0x1440, v22
	v_lshlrev_b32_e32 v28, 6, v3
	v_pk_add_f16 v19, v1, v10
	v_pk_add_f16 v23, v10, v11
	v_pk_add_f16 v10, v10, v11 neg_lo:[0,1] neg_hi:[0,1]
	v_pk_add_f16 v24, v2, v13
	v_pk_add_f16 v25, v13, v12
	v_pk_add_f16 v13, v13, v12 neg_lo:[0,1] neg_hi:[0,1]
	;; [unrolled: 3-line block ×3, first 2 shown]
	v_pk_fma_f16 v1, v23, 0.5, v1 op_sel_hi:[1,0,1] neg_lo:[1,0,0] neg_hi:[1,0,0]
	v_pk_mul_f16 v10, 0x3aee, v10 op_sel_hi:[0,1]
	v_pk_fma_f16 v2, v25, 0.5, v2 op_sel_hi:[1,0,1] neg_lo:[1,0,0] neg_hi:[1,0,0]
	v_pk_mul_f16 v13, 0x3aee, v13 op_sel_hi:[0,1]
	v_pk_add_f16 v11, v19, v11
	v_pk_fma_f16 v9, v27, 0.5, v9 op_sel_hi:[1,0,1] neg_lo:[1,0,0] neg_hi:[1,0,0]
	v_pk_mul_f16 v14, 0x3aee, v14 op_sel_hi:[0,1]
	v_pk_add_f16 v19, v1, v10 op_sel:[0,1] op_sel_hi:[1,0] neg_lo:[0,1] neg_hi:[0,1]
	v_pk_add_f16 v1, v1, v10 op_sel:[0,1] op_sel_hi:[1,0]
	v_pk_add_f16 v10, v2, v13 op_sel:[0,1] op_sel_hi:[1,0] neg_lo:[0,1] neg_hi:[0,1]
	v_pk_add_f16 v2, v2, v13 op_sel:[0,1] op_sel_hi:[1,0]
	;; [unrolled: 2-line block ×3, first 2 shown]
	v_bfi_b32 v14, 0xffff, v19, v1
	v_bfi_b32 v1, 0xffff, v1, v19
	v_pk_add_f16 v12, v24, v12
	v_bfi_b32 v19, 0xffff, v10, v2
	v_bfi_b32 v2, 0xffff, v2, v10
	ds_write2_b32 v22, v11, v14 offset1:8
	ds_write_b32 v22, v1 offset:64
	ds_write2_b32 v18, v12, v19 offset0:136 offset1:144
	ds_write_b32 v22, v2 offset:2656
	v_sub_nc_u32_e32 v23, v5, v17
	v_mul_u32_u24_e32 v12, 3, v21
	v_pk_add_f16 v16, v26, v16
	v_bfi_b32 v10, 0xffff, v13, v9
	v_add_nc_u32_e32 v11, 0x1400, v22
	v_bfi_b32 v9, 0xffff, v9, v13
	v_sub_nc_u32_e32 v13, v7, v15
	v_lshlrev_b32_e32 v1, 1, v23
	v_mov_b32_e32 v2, 0
	v_sub_nc_u32_e32 v24, v3, v12
	ds_write2_b32 v11, v16, v10 offset0:16 offset1:24
	ds_write_b32 v22, v9 offset:5248
	v_lshlrev_b32_e32 v11, 3, v13
	s_waitcnt lgkmcnt(0)
	v_lshlrev_b64 v[9:10], 2, v[1:2]
	v_lshlrev_b32_e32 v1, 1, v24
	s_barrier
	buffer_gl0_inv
	global_load_dwordx2 v[14:15], v11, s[8:9]
	v_mul_hi_u32 v25, 0x38e38e39, v3
	v_lshlrev_b64 v[11:12], 2, v[1:2]
	v_add_co_u32 v9, vcc_lo, s8, v9
	v_add_co_ci_u32_e32 v10, vcc_lo, s9, v10, vcc_lo
	v_mul_hi_u32 v1, 0xaaaaaaab, v0
	v_add_co_u32 v11, vcc_lo, s8, v11
	v_add_co_ci_u32_e32 v12, vcc_lo, s9, v12, vcc_lo
	s_clause 0x1
	global_load_dwordx2 v[16:17], v[9:10], off
	global_load_dwordx2 v[18:19], v[11:12], off
	v_mul_hi_u32 v10, 0x38e38e39, v5
	v_mul_hi_u32 v9, 0x1c71c71d, v7
	v_lshlrev_b32_e32 v12, 6, v5
	v_lshrrev_b32_e32 v32, 1, v25
	v_add_nc_u32_e32 v25, 0xa20, v22
	v_lshrrev_b32_e32 v1, 4, v1
	v_mul_u32_u24_e32 v21, 9, v21
	v_add_nc_u32_e32 v11, 0x1780, v6
	v_lshrrev_b32_e32 v30, 1, v10
	v_lshl_add_u32 v26, v9, 3, v9
	v_sub_nc_u32_e32 v12, v25, v12
	v_add_nc_u32_e32 v9, 0xa00, v6
	v_mul_u32_u24_e32 v1, 9, v1
	v_mul_u32_u24_e32 v27, 9, v30
	v_add_nc_u32_e32 v10, 0x1080, v6
	v_sub_nc_u32_e32 v31, v7, v26
	v_add_lshl_u32 v36, v20, v23, 5
	v_add_lshl_u32 v37, v21, v24, 5
	v_sub_nc_u32_e32 v33, v5, v27
	ds_read_b32 v39, v6
	ds_read_b32 v40, v12
	ds_read2_b32 v[22:23], v11 offset0:8 offset1:224
	ds_read2_b32 v[24:25], v9 offset0:8 offset1:224
	;; [unrolled: 1-line block ×3, first 2 shown]
	v_add_lshl_u32 v34, v1, v13, 5
	v_mul_u32_u24_e32 v13, 9, v32
	v_lshlrev_b32_e32 v35, 3, v31
	v_lshlrev_b32_e32 v1, 1, v33
	v_add3_u32 v36, 0, v36, v8
	v_add3_u32 v34, 0, v34, v8
	v_sub_nc_u32_e32 v38, v3, v13
	v_sub_nc_u32_e32 v13, v29, v28
	v_lshlrev_b64 v[20:21], 2, v[1:2]
	v_add3_u32 v37, 0, v37, v8
	v_mul_hi_u32 v0, 0x38e38e39, v0
	v_lshlrev_b32_e32 v1, 1, v38
	v_add_co_u32 v20, vcc_lo, s8, v20
	v_lshlrev_b64 v[28:29], 2, v[1:2]
	ds_read_u16 v1, v13
	ds_read_u16 v41, v13 offset:2
	s_waitcnt lgkmcnt(3)
	v_lshrrev_b32_e32 v45, 16, v24
	s_waitcnt lgkmcnt(2)
	v_lshrrev_b32_e32 v46, 16, v27
	v_lshrrev_b32_e32 v47, 16, v25
	;; [unrolled: 1-line block ×7, first 2 shown]
	v_add_co_ci_u32_e32 v21, vcc_lo, s9, v21, vcc_lo
	s_waitcnt vmcnt(0) lgkmcnt(0)
	s_barrier
	buffer_gl0_inv
	v_lshrrev_b32_e32 v0, 4, v0
	v_mul_u32_u24_e32 v0, 27, v0
	v_add_lshl_u32 v0, v0, v31, 5
	v_mul_f16_sdwa v50, v14, v45 dst_sel:DWORD dst_unused:UNUSED_PAD src0_sel:WORD_1 src1_sel:DWORD
	v_mul_f16_sdwa v51, v14, v24 dst_sel:DWORD dst_unused:UNUSED_PAD src0_sel:WORD_1 src1_sel:DWORD
	;; [unrolled: 1-line block ×4, first 2 shown]
	v_fmac_f16_e32 v50, v14, v24
	v_fma_f16 v45, v14, v45, -v51
	v_fma_f16 v46, v15, v46, -v53
	v_fmac_f16_e32 v52, v15, v27
	v_add_f16_e32 v24, v45, v46
	v_mul_f16_sdwa v54, v16, v47 dst_sel:DWORD dst_unused:UNUSED_PAD src0_sel:WORD_1 src1_sel:DWORD
	v_mul_f16_sdwa v55, v16, v25 dst_sel:DWORD dst_unused:UNUSED_PAD src0_sel:WORD_1 src1_sel:DWORD
	;; [unrolled: 1-line block ×6, first 2 shown]
	v_mul_f16_sdwa v53, v44, v19 dst_sel:DWORD dst_unused:UNUSED_PAD src0_sel:DWORD src1_sel:WORD_1
	v_mul_f16_sdwa v14, v23, v19 dst_sel:DWORD dst_unused:UNUSED_PAD src0_sel:DWORD src1_sel:WORD_1
	v_fmac_f16_e32 v54, v16, v25
	v_fma_f16 v15, v16, v47, -v55
	v_fmac_f16_e32 v56, v17, v22
	v_fma_f16 v16, v17, v48, -v57
	;; [unrolled: 2-line block ×4, first 2 shown]
	v_add_f16_e32 v19, v50, v52
	v_sub_f16_e32 v22, v45, v46
	v_add_f16_e32 v23, v42, v45
	v_add_f16_e32 v27, v54, v56
	v_sub_f16_e32 v44, v15, v16
	v_add_f16_e32 v45, v43, v15
	v_add_f16_e32 v15, v15, v16
	;; [unrolled: 1-line block ×3, first 2 shown]
	v_sub_f16_e32 v25, v50, v52
	v_add_f16_e32 v49, v58, v53
	v_sub_f16_e32 v50, v17, v14
	v_add_f16_e32 v51, v41, v17
	v_add_f16_e32 v17, v17, v14
	;; [unrolled: 1-line block ×3, first 2 shown]
	v_fmac_f16_e32 v39, -0.5, v19
	v_fmac_f16_e32 v42, -0.5, v24
	v_add_f16_e32 v26, v40, v54
	v_sub_f16_e32 v47, v54, v56
	v_fmac_f16_e32 v40, -0.5, v27
	v_fmac_f16_e32 v43, -0.5, v15
	v_sub_f16_e32 v54, v58, v53
	v_fmac_f16_e32 v1, -0.5, v49
	v_fmac_f16_e32 v41, -0.5, v17
	v_add_f16_e32 v18, v18, v52
	v_add_f16_e32 v19, v23, v46
	;; [unrolled: 1-line block ×4, first 2 shown]
	v_fmamk_f16 v17, v22, 0xbaee, v39
	v_fmac_f16_e32 v39, 0x3aee, v22
	v_fmamk_f16 v22, v25, 0x3aee, v42
	v_fmac_f16_e32 v42, 0xbaee, v25
	v_add_f16_e32 v23, v26, v56
	v_add_f16_e32 v16, v45, v16
	v_fmamk_f16 v24, v44, 0xbaee, v40
	v_fmamk_f16 v25, v47, 0x3aee, v43
	v_fmac_f16_e32 v40, 0x3aee, v44
	v_fmac_f16_e32 v43, 0xbaee, v47
	v_fmamk_f16 v26, v50, 0xbaee, v1
	v_fmamk_f16 v27, v54, 0x3aee, v41
	v_fmac_f16_e32 v1, 0x3aee, v50
	v_fmac_f16_e32 v41, 0xbaee, v54
	v_pack_b32_f16 v18, v18, v19
	v_pack_b32_f16 v14, v15, v14
	;; [unrolled: 1-line block ×9, first 2 shown]
	ds_write2_b32 v34, v18, v15 offset1:24
	ds_write_b32 v34, v17 offset:192
	ds_write2_b32 v36, v16, v19 offset1:24
	ds_write_b32 v36, v22 offset:192
	ds_write2_b32 v37, v14, v23 offset1:24
	ds_write_b32 v37, v1 offset:192
	v_add_co_u32 v16, vcc_lo, s8, v28
	s_waitcnt lgkmcnt(0)
	s_barrier
	buffer_gl0_inv
	global_load_dwordx2 v[14:15], v35, s[8:9] offset:24
	v_add_co_ci_u32_e32 v17, vcc_lo, s9, v29, vcc_lo
	s_clause 0x1
	global_load_dwordx2 v[18:19], v[20:21], off offset:24
	global_load_dwordx2 v[16:17], v[16:17], off offset:24
	v_mul_hi_u32 v1, 0x4bda12f7, v5
	v_mul_u32_u24_e32 v22, 27, v32
	v_mul_hi_u32 v20, 0x4bda12f7, v3
	v_mul_hi_u32 v28, 0x97b425f, v7
	v_add3_u32 v39, 0, v0, v8
	v_add_lshl_u32 v32, v22, v38, 5
	v_lshrrev_b32_e32 v29, 3, v1
	v_lshrrev_b32_e32 v34, 3, v20
	v_mul_lo_u32 v1, v28, 27
	v_add3_u32 v32, 0, v32, v8
	v_mul_u32_u24_e32 v21, 27, v29
	v_mul_u32_u24_e32 v20, 27, v34
	v_sub_nc_u32_e32 v35, v5, v21
	v_mul_u32_u24_e32 v21, 27, v30
	v_sub_nc_u32_e32 v36, v7, v1
	v_sub_nc_u32_e32 v30, v3, v20
	v_lshlrev_b32_e32 v1, 1, v35
	v_add_lshl_u32 v31, v21, v33, 5
	ds_read_b32 v33, v6
	ds_read_b32 v37, v12
	ds_read2_b32 v[22:23], v11 offset0:8 offset1:224
	ds_read2_b32 v[24:25], v9 offset0:8 offset1:224
	;; [unrolled: 1-line block ×3, first 2 shown]
	ds_read_u16 v40, v13
	ds_read_u16 v41, v13 offset:2
	v_lshlrev_b32_e32 v38, 3, v36
	v_lshlrev_b64 v[20:21], 2, v[1:2]
	v_lshlrev_b32_e32 v1, 1, v30
	v_add3_u32 v31, 0, v31, v8
	s_waitcnt vmcnt(0) lgkmcnt(0)
	s_barrier
	buffer_gl0_inv
	v_lshlrev_b64 v[0:1], 2, v[1:2]
	v_add_co_u32 v20, vcc_lo, s8, v20
	v_add_co_ci_u32_e32 v21, vcc_lo, s9, v21, vcc_lo
	v_add_co_u32 v0, vcc_lo, s8, v0
	v_lshrrev_b32_e32 v42, 16, v33
	v_lshrrev_b32_e32 v48, 16, v22
	;; [unrolled: 1-line block ×8, first 2 shown]
	v_add_co_ci_u32_e32 v1, vcc_lo, s9, v1, vcc_lo
	v_mul_f16_sdwa v50, v14, v45 dst_sel:DWORD dst_unused:UNUSED_PAD src0_sel:WORD_1 src1_sel:DWORD
	v_mul_f16_sdwa v51, v14, v24 dst_sel:DWORD dst_unused:UNUSED_PAD src0_sel:WORD_1 src1_sel:DWORD
	;; [unrolled: 1-line block ×9, first 2 shown]
	v_fma_f16 v45, v14, v45, -v51
	v_mul_f16_sdwa v51, v16, v26 dst_sel:DWORD dst_unused:UNUSED_PAD src0_sel:WORD_1 src1_sel:DWORD
	v_fma_f16 v46, v15, v46, -v53
	v_mul_f16_sdwa v53, v44, v17 dst_sel:DWORD dst_unused:UNUSED_PAD src0_sel:DWORD src1_sel:WORD_1
	v_fmac_f16_e32 v50, v14, v24
	v_mul_f16_sdwa v14, v23, v17 dst_sel:DWORD dst_unused:UNUSED_PAD src0_sel:DWORD src1_sel:WORD_1
	v_fmac_f16_e32 v52, v15, v27
	v_fmac_f16_e32 v54, v18, v25
	v_fma_f16 v15, v18, v47, -v55
	v_fmac_f16_e32 v56, v19, v22
	v_fma_f16 v18, v19, v48, -v57
	;; [unrolled: 2-line block ×4, first 2 shown]
	v_add_f16_e32 v19, v50, v52
	v_add_f16_e32 v24, v45, v46
	v_sub_f16_e32 v22, v45, v46
	v_add_f16_e32 v23, v42, v45
	v_add_f16_e32 v27, v54, v56
	v_sub_f16_e32 v44, v15, v18
	v_add_f16_e32 v45, v43, v15
	v_add_f16_e32 v15, v15, v18
	;; [unrolled: 1-line block ×3, first 2 shown]
	v_sub_f16_e32 v25, v50, v52
	v_add_f16_e32 v49, v58, v53
	v_sub_f16_e32 v50, v16, v14
	v_add_f16_e32 v51, v41, v16
	v_add_f16_e32 v16, v16, v14
	;; [unrolled: 1-line block ×3, first 2 shown]
	v_fmac_f16_e32 v33, -0.5, v19
	v_fmac_f16_e32 v42, -0.5, v24
	v_add_f16_e32 v26, v37, v54
	v_sub_f16_e32 v47, v54, v56
	v_fmac_f16_e32 v37, -0.5, v27
	v_fmac_f16_e32 v43, -0.5, v15
	v_sub_f16_e32 v54, v58, v53
	v_fmac_f16_e32 v40, -0.5, v49
	v_fmac_f16_e32 v41, -0.5, v16
	v_add_f16_e32 v17, v17, v52
	v_add_f16_e32 v19, v23, v46
	;; [unrolled: 1-line block ×4, first 2 shown]
	v_fmamk_f16 v16, v22, 0xbaee, v33
	v_fmac_f16_e32 v33, 0x3aee, v22
	v_fmamk_f16 v22, v25, 0x3aee, v42
	v_fmac_f16_e32 v42, 0xbaee, v25
	v_add_f16_e32 v23, v26, v56
	v_add_f16_e32 v18, v45, v18
	v_fmamk_f16 v24, v44, 0xbaee, v37
	v_fmamk_f16 v25, v47, 0x3aee, v43
	v_fmac_f16_e32 v37, 0x3aee, v44
	v_fmac_f16_e32 v43, 0xbaee, v47
	v_fmamk_f16 v26, v50, 0xbaee, v40
	v_fmamk_f16 v27, v54, 0x3aee, v41
	v_fmac_f16_e32 v40, 0x3aee, v50
	v_fmac_f16_e32 v41, 0xbaee, v54
	v_pack_b32_f16 v17, v17, v19
	v_pack_b32_f16 v14, v15, v14
	;; [unrolled: 1-line block ×9, first 2 shown]
	ds_write2_b32 v39, v17, v15 offset1:72
	ds_write_b32 v39, v16 offset:576
	ds_write2_b32 v31, v18, v19 offset1:72
	ds_write_b32 v31, v22 offset:576
	;; [unrolled: 2-line block ×3, first 2 shown]
	s_waitcnt lgkmcnt(0)
	s_barrier
	buffer_gl0_inv
	s_clause 0x2
	global_load_dwordx2 v[14:15], v38, s[8:9] offset:96
	global_load_dwordx2 v[16:17], v[20:21], off offset:96
	global_load_dwordx2 v[0:1], v[0:1], off offset:96
	v_mul_u32_u24_e32 v25, 0x51, v28
	v_mul_u32_u24_e32 v26, 0x51, v29
	ds_read_b32 v28, v6
	ds_read_b32 v29, v12
	ds_read2_b32 v[18:19], v11 offset0:8 offset1:224
	ds_read2_b32 v[20:21], v9 offset0:8 offset1:224
	;; [unrolled: 1-line block ×3, first 2 shown]
	v_or_b32_e32 v24, s21, v4
	v_mul_u32_u24_e32 v27, 0x51, v34
	v_cmp_gt_u32_e32 vcc_lo, s14, v24
	v_add_lshl_u32 v24, v25, v36, 5
	v_add_lshl_u32 v25, v26, v35, 5
	v_add_lshl_u32 v26, v27, v30, 5
	s_or_b32 s3, s3, vcc_lo
	v_add3_u32 v24, 0, v24, v8
	v_add3_u32 v25, 0, v25, v8
	;; [unrolled: 1-line block ×3, first 2 shown]
	ds_read_u16 v26, v13
	ds_read_u16 v27, v13 offset:2
	s_waitcnt lgkmcnt(6)
	v_lshrrev_b32_e32 v30, 16, v28
	s_waitcnt lgkmcnt(5)
	v_lshrrev_b32_e32 v31, 16, v29
	;; [unrolled: 2-line block ×5, first 2 shown]
	v_lshrrev_b32_e32 v35, 16, v21
	v_lshrrev_b32_e32 v32, 16, v19
	;; [unrolled: 1-line block ×3, first 2 shown]
	s_waitcnt vmcnt(0) lgkmcnt(0)
	s_barrier
	buffer_gl0_inv
	v_mul_f16_sdwa v42, v16, v35 dst_sel:DWORD dst_unused:UNUSED_PAD src0_sel:WORD_1 src1_sel:DWORD
	v_mul_f16_sdwa v38, v14, v33 dst_sel:DWORD dst_unused:UNUSED_PAD src0_sel:WORD_1 src1_sel:DWORD
	;; [unrolled: 1-line block ×10, first 2 shown]
	v_mul_f16_sdwa v48, v32, v1 dst_sel:DWORD dst_unused:UNUSED_PAD src0_sel:DWORD src1_sel:WORD_1
	v_mul_f16_sdwa v49, v19, v1 dst_sel:DWORD dst_unused:UNUSED_PAD src0_sel:DWORD src1_sel:WORD_1
	v_fmac_f16_e32 v38, v14, v20
	v_fma_f16 v14, v14, v33, -v39
	v_fmac_f16_e32 v40, v15, v23
	v_fma_f16 v15, v15, v34, -v41
	v_fmac_f16_e32 v42, v16, v21
	v_fma_f16 v16, v16, v35, -v43
	v_fmac_f16_e32 v44, v17, v18
	v_fma_f16 v17, v17, v36, -v45
	v_fmac_f16_e32 v46, v0, v22
	v_fma_f16 v0, v0, v37, -v47
	v_fmac_f16_e32 v48, v19, v1
	v_fma_f16 v1, v32, v1, -v49
	v_add_f16_e32 v19, v38, v40
	v_sub_f16_e32 v20, v14, v15
	v_add_f16_e32 v21, v30, v14
	v_add_f16_e32 v14, v14, v15
	;; [unrolled: 1-line block ×3, first 2 shown]
	v_sub_f16_e32 v33, v16, v17
	v_add_f16_e32 v34, v31, v16
	v_add_f16_e32 v16, v16, v17
	v_add_f16_e32 v18, v28, v38
	v_sub_f16_e32 v22, v38, v40
	v_add_f16_e32 v37, v46, v48
	v_sub_f16_e32 v38, v0, v1
	v_add_f16_e32 v39, v27, v0
	v_add_f16_e32 v0, v0, v1
	v_fmac_f16_e32 v28, -0.5, v19
	v_fmac_f16_e32 v30, -0.5, v14
	v_add_f16_e32 v36, v26, v46
	v_add_f16_e32 v23, v29, v42
	v_sub_f16_e32 v35, v42, v44
	v_fmac_f16_e32 v29, -0.5, v32
	v_fmac_f16_e32 v31, -0.5, v16
	v_sub_f16_e32 v41, v46, v48
	v_fmac_f16_e32 v26, -0.5, v37
	v_fmac_f16_e32 v27, -0.5, v0
	v_add_f16_e32 v18, v18, v40
	v_add_f16_e32 v15, v21, v15
	v_fmamk_f16 v0, v20, 0xbaee, v28
	v_fmamk_f16 v19, v22, 0x3aee, v30
	v_add_f16_e32 v16, v36, v48
	v_add_f16_e32 v1, v39, v1
	v_fmac_f16_e32 v28, 0x3aee, v20
	v_fmac_f16_e32 v30, 0xbaee, v22
	v_add_f16_e32 v14, v23, v44
	v_add_f16_e32 v17, v34, v17
	v_fmamk_f16 v20, v33, 0xbaee, v29
	v_fmamk_f16 v21, v35, 0x3aee, v31
	v_fmac_f16_e32 v29, 0x3aee, v33
	v_fmac_f16_e32 v31, 0xbaee, v35
	v_fmamk_f16 v22, v38, 0xbaee, v26
	v_fmamk_f16 v23, v41, 0x3aee, v27
	v_fmac_f16_e32 v26, 0x3aee, v38
	v_fmac_f16_e32 v27, 0xbaee, v41
	v_pack_b32_f16 v15, v18, v15
	v_pack_b32_f16 v0, v0, v19
	;; [unrolled: 1-line block ×9, first 2 shown]
	ds_write2_b32 v24, v15, v0 offset1:216
	ds_write_b32 v24, v16 offset:1728
	ds_write2_b32 v25, v14, v17 offset1:216
	ds_write_b32 v25, v18 offset:1728
	;; [unrolled: 2-line block ×3, first 2 shown]
	s_waitcnt lgkmcnt(0)
	s_barrier
	buffer_gl0_inv
	s_and_saveexec_b32 s13, s3
	s_cbranch_execz .LBB0_12
; %bb.11:
	v_mul_hi_u32 v0, 0x1948b0fd, v3
	v_mul_hi_u32 v8, 0x1948b0fd, v7
	s_load_dwordx2 s[4:5], s[4:5], 0x60
	s_mul_i32 s14, s2, 0x51
	s_mul_i32 s3, s1, s21
	;; [unrolled: 1-line block ×4, first 2 shown]
	v_lshrrev_b32_e32 v22, 3, v0
	v_mul_hi_u32 v0, 0x1948b0fd, v5
	v_lshrrev_b32_e32 v8, 3, v8
	v_mul_u32_u24_e32 v1, 0x51, v22
	v_mad_u32_u24 v28, 0xa2, v22, v3
	v_mul_u32_u24_e32 v8, 0x51, v8
	v_lshrrev_b32_e32 v23, 3, v0
	v_sub_nc_u32_e32 v0, v3, v1
	v_sub_nc_u32_e32 v24, v7, v8
	v_mul_u32_u24_e32 v14, 0x51, v23
	v_lshlrev_b32_e32 v1, 1, v0
	v_mad_u32_u24 v25, 0xa2, v23, v5
	v_lshlrev_b32_e32 v16, 3, v24
	v_sub_nc_u32_e32 v0, v5, v14
	v_lshlrev_b64 v[14:15], 2, v[1:2]
	v_lshlrev_b32_e32 v1, 1, v0
	v_add_co_u32 v14, vcc_lo, s8, v14
	v_add_co_ci_u32_e32 v15, vcc_lo, s9, v15, vcc_lo
	v_lshlrev_b64 v[0:1], 2, v[1:2]
	global_load_dwordx2 v[14:15], v[14:15], off offset:312
	v_add_co_u32 v0, vcc_lo, s8, v0
	v_add_co_ci_u32_e32 v1, vcc_lo, s9, v1, vcc_lo
	s_clause 0x1
	global_load_dwordx2 v[7:8], v[0:1], off offset:312
	global_load_dwordx2 v[16:17], v16, s[8:9] offset:312
	ds_read_u16 v32, v13 offset:2
	ds_read2_b32 v[18:19], v10 offset0:24 offset1:240
	ds_read2_b32 v[10:11], v11 offset0:8 offset1:224
	ds_read2_b32 v[20:21], v9 offset0:8 offset1:224
	ds_read_u16 v9, v13
	ds_read_b32 v33, v12
	v_mad_u64_u32 v[12:13], null, s0, v4, 0
	s_mul_hi_u32 s9, s0, s21
	s_mul_i32 s0, s11, s15
	s_mul_hi_u32 s11, s10, s15
	s_add_i32 s13, s9, s3
	ds_read_b32 v34, v6
	s_mul_i32 s8, s10, s15
	v_mov_b32_e32 v0, v13
	s_add_i32 s9, s11, s0
	s_lshl_b64 s[10:11], s[12:13], 2
	s_waitcnt lgkmcnt(0)
	s_add_u32 s3, s4, s10
	v_mad_u64_u32 v[0:1], null, s1, v4, v[0:1]
	v_mul_lo_u32 v1, v24, s2
	s_addc_u32 s4, s5, s11
	s_lshl_b64 s[0:1], s[6:7], 2
	v_lshrrev_b32_e32 v35, 16, v18
	s_add_u32 s3, s3, s0
	s_addc_u32 s4, s4, s1
	v_mov_b32_e32 v13, v0
	s_lshl_b64 s[0:1], s[8:9], 2
	v_lshlrev_b64 v[3:4], 2, v[1:2]
	v_add_nc_u32_e32 v1, s14, v1
	s_add_u32 s0, s3, s0
	v_lshlrev_b64 v[12:13], 2, v[12:13]
	s_addc_u32 s1, s4, s1
	v_lshrrev_b32_e32 v36, 16, v11
	v_lshlrev_b64 v[5:6], 2, v[1:2]
	v_add_nc_u32_e32 v1, s14, v1
	v_lshrrev_b32_e32 v38, 16, v21
	v_add_co_u32 v42, vcc_lo, s0, v12
	v_add_co_ci_u32_e32 v43, vcc_lo, s1, v13, vcc_lo
	v_lshlrev_b64 v[22:23], 2, v[1:2]
	v_mul_lo_u32 v1, v25, s2
	v_add_co_u32 v3, vcc_lo, v42, v3
	v_add_co_ci_u32_e32 v4, vcc_lo, v43, v4, vcc_lo
	v_add_co_u32 v5, vcc_lo, v42, v5
	v_add_co_ci_u32_e32 v6, vcc_lo, v43, v6, vcc_lo
	v_lshlrev_b64 v[12:13], 2, v[1:2]
	v_add_nc_u32_e32 v1, s14, v1
	v_add_co_u32 v22, vcc_lo, v42, v22
	v_add_co_ci_u32_e32 v23, vcc_lo, v43, v23, vcc_lo
	v_lshlrev_b64 v[24:25], 2, v[1:2]
	v_add_nc_u32_e32 v1, s14, v1
	v_add_co_u32 v12, vcc_lo, v42, v12
	v_add_co_ci_u32_e32 v13, vcc_lo, v43, v13, vcc_lo
	v_lshlrev_b64 v[26:27], 2, v[1:2]
	v_mul_lo_u32 v1, v28, s2
	v_add_co_u32 v24, vcc_lo, v42, v24
	v_add_co_ci_u32_e32 v25, vcc_lo, v43, v25, vcc_lo
	v_add_co_u32 v26, vcc_lo, v42, v26
	v_add_co_ci_u32_e32 v27, vcc_lo, v43, v27, vcc_lo
	v_lshlrev_b64 v[28:29], 2, v[1:2]
	v_add_nc_u32_e32 v1, s14, v1
	v_lshrrev_b32_e32 v39, 16, v10
	v_lshrrev_b32_e32 v41, 16, v20
	;; [unrolled: 1-line block ×4, first 2 shown]
	v_lshlrev_b64 v[30:31], 2, v[1:2]
	v_add_nc_u32_e32 v1, s14, v1
	v_add_co_u32 v28, vcc_lo, v42, v28
	v_add_co_ci_u32_e32 v29, vcc_lo, v43, v29, vcc_lo
	v_lshlrev_b64 v[0:1], 2, v[1:2]
	v_add_co_u32 v30, vcc_lo, v42, v30
	v_add_co_ci_u32_e32 v31, vcc_lo, v43, v31, vcc_lo
	v_lshrrev_b32_e32 v40, 16, v34
	v_add_co_u32 v0, vcc_lo, v42, v0
	v_add_co_ci_u32_e32 v1, vcc_lo, v43, v1, vcc_lo
	s_waitcnt vmcnt(2)
	v_mul_f16_sdwa v2, v14, v18 dst_sel:DWORD dst_unused:UNUSED_PAD src0_sel:WORD_1 src1_sel:DWORD
	v_mul_f16_sdwa v45, v11, v15 dst_sel:DWORD dst_unused:UNUSED_PAD src0_sel:DWORD src1_sel:WORD_1
	v_mul_f16_sdwa v46, v14, v35 dst_sel:DWORD dst_unused:UNUSED_PAD src0_sel:WORD_1 src1_sel:DWORD
	v_mul_f16_sdwa v47, v36, v15 dst_sel:DWORD dst_unused:UNUSED_PAD src0_sel:DWORD src1_sel:WORD_1
	v_fma_f16 v2, v14, v35, -v2
	v_fma_f16 v35, v36, v15, -v45
	v_fmac_f16_e32 v46, v14, v18
	v_fmac_f16_e32 v47, v11, v15
	s_waitcnt vmcnt(1)
	v_mul_f16_sdwa v11, v7, v21 dst_sel:DWORD dst_unused:UNUSED_PAD src0_sel:WORD_1 src1_sel:DWORD
	v_mul_f16_sdwa v14, v8, v10 dst_sel:DWORD dst_unused:UNUSED_PAD src0_sel:WORD_1 src1_sel:DWORD
	;; [unrolled: 1-line block ×4, first 2 shown]
	s_waitcnt vmcnt(0)
	v_mul_f16_sdwa v36, v16, v20 dst_sel:DWORD dst_unused:UNUSED_PAD src0_sel:WORD_1 src1_sel:DWORD
	v_mul_f16_sdwa v42, v17, v19 dst_sel:DWORD dst_unused:UNUSED_PAD src0_sel:WORD_1 src1_sel:DWORD
	;; [unrolled: 1-line block ×4, first 2 shown]
	v_add_f16_e32 v48, v2, v35
	v_add_f16_e32 v50, v32, v2
	;; [unrolled: 1-line block ×3, first 2 shown]
	v_fma_f16 v11, v7, v38, -v11
	v_fma_f16 v14, v8, v39, -v14
	v_fmac_f16_e32 v15, v7, v21
	v_fmac_f16_e32 v18, v8, v10
	v_fma_f16 v7, v16, v41, -v36
	v_fma_f16 v8, v17, v44, -v42
	v_fmac_f16_e32 v43, v16, v20
	v_fmac_f16_e32 v45, v17, v19
	v_sub_f16_e32 v49, v46, v47
	v_sub_f16_e32 v2, v2, v35
	v_add_f16_e32 v46, v9, v46
	v_fma_f16 v10, -0.5, v48, v32
	v_add_f16_e32 v16, v50, v35
	v_fma_f16 v9, -0.5, v51, v9
	v_add_f16_e32 v19, v11, v14
	v_sub_f16_e32 v20, v15, v18
	v_add_f16_e32 v21, v37, v11
	v_add_f16_e32 v32, v15, v18
	;; [unrolled: 1-line block ×8, first 2 shown]
	v_sub_f16_e32 v11, v11, v14
	v_sub_f16_e32 v36, v43, v45
	;; [unrolled: 1-line block ×3, first 2 shown]
	v_fmamk_f16 v43, v2, 0x3aee, v9
	v_fmac_f16_e32 v9, 0xbaee, v2
	v_fma_f16 v2, -0.5, v19, v37
	v_add_f16_e32 v14, v21, v14
	v_fma_f16 v19, -0.5, v32, v33
	v_add_f16_e32 v15, v15, v18
	v_fma_f16 v18, -0.5, v35, v40
	v_fma_f16 v21, -0.5, v39, v34
	v_add_f16_e32 v8, v38, v8
	v_add_f16_e32 v32, v41, v45
	v_pack_b32_f16 v16, v17, v16
	v_fmamk_f16 v17, v20, 0xbaee, v2
	v_fmac_f16_e32 v2, 0x3aee, v20
	v_fmamk_f16 v20, v11, 0x3aee, v19
	v_fmac_f16_e32 v19, 0xbaee, v11
	;; [unrolled: 2-line block ×4, first 2 shown]
	v_pack_b32_f16 v7, v32, v8
	v_fmamk_f16 v42, v49, 0xbaee, v10
	v_fmac_f16_e32 v10, 0x3aee, v49
	v_pack_b32_f16 v8, v15, v14
	v_pack_b32_f16 v14, v21, v18
	;; [unrolled: 1-line block ×4, first 2 shown]
	global_store_dword v[3:4], v7, off
	v_pack_b32_f16 v3, v20, v17
	v_pack_b32_f16 v9, v9, v10
	;; [unrolled: 1-line block ×3, first 2 shown]
	global_store_dword v[5:6], v14, off
	global_store_dword v[22:23], v11, off
	global_store_dword v[12:13], v8, off
	global_store_dword v[24:25], v2, off
	global_store_dword v[26:27], v3, off
	global_store_dword v[28:29], v16, off
	global_store_dword v[30:31], v9, off
	global_store_dword v[0:1], v10, off
.LBB0_12:
	s_endpgm
	.section	.rodata,"a",@progbits
	.p2align	6, 0x0
	.amdhsa_kernel fft_rtc_back_len243_factors_3_3_3_3_3_wgs_216_tpt_27_half_op_CI_CI_sbrc_xy_z_unaligned_dirReg
		.amdhsa_group_segment_fixed_size 0
		.amdhsa_private_segment_fixed_size 0
		.amdhsa_kernarg_size 104
		.amdhsa_user_sgpr_count 6
		.amdhsa_user_sgpr_private_segment_buffer 1
		.amdhsa_user_sgpr_dispatch_ptr 0
		.amdhsa_user_sgpr_queue_ptr 0
		.amdhsa_user_sgpr_kernarg_segment_ptr 1
		.amdhsa_user_sgpr_dispatch_id 0
		.amdhsa_user_sgpr_flat_scratch_init 0
		.amdhsa_user_sgpr_private_segment_size 0
		.amdhsa_wavefront_size32 1
		.amdhsa_uses_dynamic_stack 0
		.amdhsa_system_sgpr_private_segment_wavefront_offset 0
		.amdhsa_system_sgpr_workgroup_id_x 1
		.amdhsa_system_sgpr_workgroup_id_y 0
		.amdhsa_system_sgpr_workgroup_id_z 0
		.amdhsa_system_sgpr_workgroup_info 0
		.amdhsa_system_vgpr_workitem_id 0
		.amdhsa_next_free_vgpr 59
		.amdhsa_next_free_sgpr 26
		.amdhsa_reserve_vcc 1
		.amdhsa_reserve_flat_scratch 0
		.amdhsa_float_round_mode_32 0
		.amdhsa_float_round_mode_16_64 0
		.amdhsa_float_denorm_mode_32 3
		.amdhsa_float_denorm_mode_16_64 3
		.amdhsa_dx10_clamp 1
		.amdhsa_ieee_mode 1
		.amdhsa_fp16_overflow 0
		.amdhsa_workgroup_processor_mode 1
		.amdhsa_memory_ordered 1
		.amdhsa_forward_progress 0
		.amdhsa_shared_vgpr_count 0
		.amdhsa_exception_fp_ieee_invalid_op 0
		.amdhsa_exception_fp_denorm_src 0
		.amdhsa_exception_fp_ieee_div_zero 0
		.amdhsa_exception_fp_ieee_overflow 0
		.amdhsa_exception_fp_ieee_underflow 0
		.amdhsa_exception_fp_ieee_inexact 0
		.amdhsa_exception_int_div_zero 0
	.end_amdhsa_kernel
	.text
.Lfunc_end0:
	.size	fft_rtc_back_len243_factors_3_3_3_3_3_wgs_216_tpt_27_half_op_CI_CI_sbrc_xy_z_unaligned_dirReg, .Lfunc_end0-fft_rtc_back_len243_factors_3_3_3_3_3_wgs_216_tpt_27_half_op_CI_CI_sbrc_xy_z_unaligned_dirReg
                                        ; -- End function
	.section	.AMDGPU.csdata,"",@progbits
; Kernel info:
; codeLenInByte = 6716
; NumSgprs: 28
; NumVgprs: 59
; ScratchSize: 0
; MemoryBound: 0
; FloatMode: 240
; IeeeMode: 1
; LDSByteSize: 0 bytes/workgroup (compile time only)
; SGPRBlocks: 3
; VGPRBlocks: 7
; NumSGPRsForWavesPerEU: 28
; NumVGPRsForWavesPerEU: 59
; Occupancy: 16
; WaveLimiterHint : 1
; COMPUTE_PGM_RSRC2:SCRATCH_EN: 0
; COMPUTE_PGM_RSRC2:USER_SGPR: 6
; COMPUTE_PGM_RSRC2:TRAP_HANDLER: 0
; COMPUTE_PGM_RSRC2:TGID_X_EN: 1
; COMPUTE_PGM_RSRC2:TGID_Y_EN: 0
; COMPUTE_PGM_RSRC2:TGID_Z_EN: 0
; COMPUTE_PGM_RSRC2:TIDIG_COMP_CNT: 0
	.text
	.p2alignl 6, 3214868480
	.fill 48, 4, 3214868480
	.type	__hip_cuid_833bafc25ba82023,@object ; @__hip_cuid_833bafc25ba82023
	.section	.bss,"aw",@nobits
	.globl	__hip_cuid_833bafc25ba82023
__hip_cuid_833bafc25ba82023:
	.byte	0                               ; 0x0
	.size	__hip_cuid_833bafc25ba82023, 1

	.ident	"AMD clang version 19.0.0git (https://github.com/RadeonOpenCompute/llvm-project roc-6.4.0 25133 c7fe45cf4b819c5991fe208aaa96edf142730f1d)"
	.section	".note.GNU-stack","",@progbits
	.addrsig
	.addrsig_sym __hip_cuid_833bafc25ba82023
	.amdgpu_metadata
---
amdhsa.kernels:
  - .args:
      - .actual_access:  read_only
        .address_space:  global
        .offset:         0
        .size:           8
        .value_kind:     global_buffer
      - .offset:         8
        .size:           8
        .value_kind:     by_value
      - .actual_access:  read_only
        .address_space:  global
        .offset:         16
        .size:           8
        .value_kind:     global_buffer
      - .actual_access:  read_only
        .address_space:  global
        .offset:         24
        .size:           8
        .value_kind:     global_buffer
      - .actual_access:  read_only
        .address_space:  global
        .offset:         32
        .size:           8
        .value_kind:     global_buffer
      - .offset:         40
        .size:           8
        .value_kind:     by_value
      - .actual_access:  read_only
        .address_space:  global
        .offset:         48
        .size:           8
        .value_kind:     global_buffer
      - .actual_access:  read_only
        .address_space:  global
        .offset:         56
        .size:           8
        .value_kind:     global_buffer
      - .offset:         64
        .size:           4
        .value_kind:     by_value
      - .actual_access:  read_only
        .address_space:  global
        .offset:         72
        .size:           8
        .value_kind:     global_buffer
      - .actual_access:  read_only
        .address_space:  global
        .offset:         80
        .size:           8
        .value_kind:     global_buffer
      - .actual_access:  read_only
        .address_space:  global
        .offset:         88
        .size:           8
        .value_kind:     global_buffer
      - .actual_access:  write_only
        .address_space:  global
        .offset:         96
        .size:           8
        .value_kind:     global_buffer
    .group_segment_fixed_size: 0
    .kernarg_segment_align: 8
    .kernarg_segment_size: 104
    .language:       OpenCL C
    .language_version:
      - 2
      - 0
    .max_flat_workgroup_size: 216
    .name:           fft_rtc_back_len243_factors_3_3_3_3_3_wgs_216_tpt_27_half_op_CI_CI_sbrc_xy_z_unaligned_dirReg
    .private_segment_fixed_size: 0
    .sgpr_count:     28
    .sgpr_spill_count: 0
    .symbol:         fft_rtc_back_len243_factors_3_3_3_3_3_wgs_216_tpt_27_half_op_CI_CI_sbrc_xy_z_unaligned_dirReg.kd
    .uniform_work_group_size: 1
    .uses_dynamic_stack: false
    .vgpr_count:     59
    .vgpr_spill_count: 0
    .wavefront_size: 32
    .workgroup_processor_mode: 1
amdhsa.target:   amdgcn-amd-amdhsa--gfx1030
amdhsa.version:
  - 1
  - 2
...

	.end_amdgpu_metadata
